;; amdgpu-corpus repo=ROCm/rocFFT kind=compiled arch=gfx1030 opt=O3
	.text
	.amdgcn_target "amdgcn-amd-amdhsa--gfx1030"
	.amdhsa_code_object_version 6
	.protected	bluestein_single_fwd_len144_dim1_dp_op_CI_CI ; -- Begin function bluestein_single_fwd_len144_dim1_dp_op_CI_CI
	.globl	bluestein_single_fwd_len144_dim1_dp_op_CI_CI
	.p2align	8
	.type	bluestein_single_fwd_len144_dim1_dp_op_CI_CI,@function
bluestein_single_fwd_len144_dim1_dp_op_CI_CI: ; @bluestein_single_fwd_len144_dim1_dp_op_CI_CI
; %bb.0:
	s_load_dwordx4 s[16:19], s[4:5], 0x28
	v_mul_u32_u24_e32 v1, 0x1556, v0
	s_mov_b32 s0, exec_lo
	v_lshrrev_b32_e32 v1, 16, v1
	v_mad_u64_u32 v[124:125], null, s6, 10, v[1:2]
	v_mov_b32_e32 v125, 0
	s_waitcnt lgkmcnt(0)
	v_cmpx_gt_u64_e64 s[16:17], v[124:125]
	s_cbranch_execz .LBB0_2
; %bb.1:
	s_clause 0x1
	s_load_dwordx4 s[0:3], s[4:5], 0x18
	s_load_dwordx4 s[8:11], s[4:5], 0x0
	v_mul_lo_u16 v1, v1, 12
	v_mul_hi_u32 v81, 0xcccccccd, v124
	s_load_dwordx2 s[4:5], s[4:5], 0x38
	v_sub_nc_u16 v80, v0, v1
	v_lshrrev_b32_e32 v81, 3, v81
	v_and_b32_e32 v128, 0xffff, v80
	v_mul_lo_u32 v81, v81, 10
	v_or_b32_e32 v130, 0x60, v128
	v_or_b32_e32 v127, 48, v128
	v_lshlrev_b32_e32 v129, 4, v128
	s_waitcnt lgkmcnt(0)
	s_load_dwordx4 s[12:15], s[0:1], 0x0
	v_add_co_u32 v132, s7, s8, v129
	v_add_co_ci_u32_e64 v133, null, s9, 0, s7
	v_sub_nc_u32_e32 v81, v124, v81
	v_mul_u32_u24_e32 v81, 0x90, v81
	s_waitcnt lgkmcnt(0)
	v_mad_u64_u32 v[16:17], null, s14, v124, 0
	v_mad_u64_u32 v[18:19], null, s12, v128, 0
	s_mul_i32 s0, s13, 0x180
	s_mul_hi_u32 s1, s12, 0x180
	s_mul_i32 s6, s12, 0x180
	s_add_i32 s1, s1, s0
	v_mov_b32_e32 v0, v17
	v_mad_u64_u32 v[40:41], null, s12, v130, 0
	v_mov_b32_e32 v4, v19
	v_mad_u64_u32 v[42:43], null, s12, v127, 0
	v_mad_u64_u32 v[19:20], null, s15, v124, v[0:1]
	;; [unrolled: 1-line block ×3, first 2 shown]
	s_mul_i32 s0, s13, 0x300
	s_mul_i32 s7, s13, 0xfffff940
	v_mov_b32_e32 v24, v43
	global_load_dwordx4 v[0:3], v129, s[8:9] offset:1536
	v_mov_b32_e32 v17, v19
	s_clause 0x2
	global_load_dwordx4 v[4:7], v129, s[8:9] offset:1920
	global_load_dwordx4 v[12:15], v129, s[8:9]
	global_load_dwordx4 v[8:11], v129, s[8:9] offset:192
	v_mov_b32_e32 v19, v20
	v_mad_u64_u32 v[48:49], null, s13, v127, v[24:25]
	v_lshlrev_b64 v[16:17], 4, v[16:17]
	v_lshlrev_b64 v[18:19], 4, v[18:19]
	v_mov_b32_e32 v43, v48
	v_add_co_u32 v50, vcc_lo, s18, v16
	v_add_co_ci_u32_e32 v51, vcc_lo, s19, v17, vcc_lo
	v_mov_b32_e32 v16, v41
	v_add_co_u32 v44, vcc_lo, v50, v18
	v_add_co_ci_u32_e32 v45, vcc_lo, v51, v19, vcc_lo
	v_mad_u64_u32 v[32:33], null, s13, v130, v[16:17]
	v_add_co_u32 v46, vcc_lo, v44, s6
	v_add_co_ci_u32_e32 v47, vcc_lo, s1, v45, vcc_lo
	v_lshlrev_b64 v[42:43], 4, v[42:43]
	s_clause 0x1
	global_load_dwordx4 v[20:23], v129, s[8:9] offset:384
	global_load_dwordx4 v[16:19], v129, s[8:9] offset:576
	v_mov_b32_e32 v41, v32
	v_mad_u64_u32 v[64:65], null, 0x300, s12, v[46:47]
	s_clause 0x3
	global_load_dwordx4 v[24:27], v129, s[8:9] offset:768
	global_load_dwordx4 v[28:31], v129, s[8:9] offset:960
	;; [unrolled: 1-line block ×4, first 2 shown]
	v_lshlrev_b64 v[40:41], 4, v[40:41]
	v_add_nc_u32_e32 v65, s0, v65
	v_add_co_u32 v40, vcc_lo, v50, v40
	v_add_co_ci_u32_e32 v41, vcc_lo, v51, v41, vcc_lo
	v_mad_u64_u32 v[68:69], null, 0x300, s12, v[64:65]
	v_add_co_u32 v42, vcc_lo, v50, v42
	v_add_co_ci_u32_e32 v43, vcc_lo, v51, v43, vcc_lo
	s_clause 0x1
	global_load_dwordx4 v[48:51], v[44:45], off
	global_load_dwordx4 v[52:55], v[40:41], off
	v_add_nc_u32_e32 v69, s0, v69
	s_sub_i32 s0, s7, s12
	v_add_co_u32 v125, vcc_lo, 0x800, v132
	v_add_co_ci_u32_e32 v126, vcc_lo, 0, v133, vcc_lo
	v_mad_u64_u32 v[72:73], null, 0xfffff940, s12, v[68:69]
	s_clause 0x2
	global_load_dwordx4 v[56:59], v[42:43], off
	global_load_dwordx4 v[60:63], v[46:47], off
	;; [unrolled: 1-line block ×3, first 2 shown]
	v_add_nc_u32_e32 v73, s0, v73
	v_add_co_u32 v40, vcc_lo, v72, s6
	v_add_co_ci_u32_e32 v41, vcc_lo, s1, v73, vcc_lo
	v_add_co_u32 v42, vcc_lo, v40, s6
	s_clause 0x1
	global_load_dwordx4 v[68:71], v[68:69], off
	global_load_dwordx4 v[72:75], v[72:73], off
	v_add_co_ci_u32_e32 v43, vcc_lo, s1, v41, vcc_lo
	v_add_co_u32 v44, vcc_lo, v42, s6
	global_load_dwordx4 v[76:79], v[40:41], off
	v_add_co_ci_u32_e32 v45, vcc_lo, s1, v43, vcc_lo
	v_add_co_u32 v46, vcc_lo, v44, s6
	;; [unrolled: 3-line block ×3, first 2 shown]
	s_mov_b32 s6, 0xe8584caa
	v_add_co_ci_u32_e32 v95, vcc_lo, s1, v47, vcc_lo
	global_load_dwordx4 v[86:89], v[44:45], off
	global_load_dwordx4 v[40:43], v129, s[8:9] offset:1728
	global_load_dwordx4 v[90:93], v[46:47], off
	global_load_dwordx4 v[44:47], v[125:126], off offset:64
	global_load_dwordx4 v[94:97], v[94:95], off
	v_lshl_add_u32 v129, v81, 4, v129
	s_load_dwordx4 s[0:3], s[2:3], 0x0
	s_mov_b32 s7, 0x3febb67a
	s_mov_b32 s9, 0xbfebb67a
	s_mov_b32 s8, s6
	v_cmp_gt_u16_e32 vcc_lo, 6, v80
	s_waitcnt vmcnt(13)
	v_mul_f64 v[98:99], v[50:51], v[14:15]
	v_mul_f64 v[100:101], v[48:49], v[14:15]
	s_waitcnt vmcnt(12)
	v_mul_f64 v[102:103], v[54:55], v[2:3]
	v_mul_f64 v[104:105], v[52:53], v[2:3]
	;; [unrolled: 3-line block ×5, first 2 shown]
	v_fma_f64 v[48:49], v[48:49], v[12:13], v[98:99]
	v_fma_f64 v[50:51], v[50:51], v[12:13], -v[100:101]
	s_waitcnt vmcnt(8)
	v_mul_f64 v[98:99], v[70:71], v[6:7]
	v_mul_f64 v[100:101], v[68:69], v[6:7]
	s_waitcnt vmcnt(7)
	v_mul_f64 v[118:119], v[74:75], v[10:11]
	v_mul_f64 v[120:121], v[72:73], v[10:11]
	v_fma_f64 v[52:53], v[52:53], v[0:1], v[102:103]
	v_fma_f64 v[54:55], v[54:55], v[0:1], -v[104:105]
	s_waitcnt vmcnt(6)
	v_mul_f64 v[122:123], v[78:79], v[18:19]
	v_mul_f64 v[134:135], v[76:77], v[18:19]
	v_fma_f64 v[56:57], v[56:57], v[24:25], v[106:107]
	v_fma_f64 v[58:59], v[58:59], v[24:25], -v[108:109]
	v_fma_f64 v[60:61], v[60:61], v[20:21], v[110:111]
	s_waitcnt vmcnt(5)
	v_mul_f64 v[136:137], v[84:85], v[30:31]
	v_mul_f64 v[138:139], v[82:83], v[30:31]
	v_fma_f64 v[62:63], v[62:63], v[20:21], -v[112:113]
	v_fma_f64 v[64:65], v[64:65], v[36:37], v[114:115]
	s_waitcnt vmcnt(4)
	v_mul_f64 v[140:141], v[88:89], v[34:35]
	v_mul_f64 v[142:143], v[86:87], v[34:35]
	s_waitcnt vmcnt(2)
	v_mul_f64 v[144:145], v[92:93], v[42:43]
	v_mul_f64 v[146:147], v[90:91], v[42:43]
	;; [unrolled: 3-line block ×3, first 2 shown]
	v_fma_f64 v[66:67], v[66:67], v[36:37], -v[116:117]
	v_fma_f64 v[68:69], v[68:69], v[4:5], v[98:99]
	v_fma_f64 v[70:71], v[70:71], v[4:5], -v[100:101]
	v_fma_f64 v[72:73], v[72:73], v[8:9], v[118:119]
	v_fma_f64 v[74:75], v[74:75], v[8:9], -v[120:121]
	v_or_b32_e32 v98, v81, v128
	v_fma_f64 v[76:77], v[76:77], v[16:17], v[122:123]
	v_fma_f64 v[78:79], v[78:79], v[16:17], -v[134:135]
	v_lshlrev_b32_e32 v131, 4, v98
	v_fma_f64 v[82:83], v[82:83], v[28:29], v[136:137]
	v_fma_f64 v[84:85], v[84:85], v[28:29], -v[138:139]
	v_fma_f64 v[86:87], v[86:87], v[32:33], v[140:141]
	v_fma_f64 v[88:89], v[88:89], v[32:33], -v[142:143]
	;; [unrolled: 2-line block ×4, first 2 shown]
	ds_write_b128 v131, v[48:51]
	ds_write_b128 v129, v[52:55] offset:1536
	ds_write_b128 v129, v[56:59] offset:768
	;; [unrolled: 1-line block ×11, first 2 shown]
	s_waitcnt lgkmcnt(0)
	s_barrier
	buffer_gl0_inv
	ds_read_b128 v[48:51], v129 offset:1920
	ds_read_b128 v[52:55], v129 offset:1152
	;; [unrolled: 1-line block ×6, first 2 shown]
	v_add_co_u32 v72, null, v128, 12
	v_add_nc_u32_e32 v84, -6, v128
	v_mul_lo_u16 v79, v80, 6
	v_and_b32_e32 v73, 0xff, v72
	v_mul_u32_u24_e32 v146, 6, v72
	v_and_b32_e32 v123, 0xffff, v79
	v_mul_lo_u16 v93, 0xab, v73
	ds_read_b128 v[73:76], v131
	ds_read_b128 v[85:88], v129 offset:1536
	ds_read_b128 v[89:92], v129 offset:768
	s_waitcnt lgkmcnt(7)
	v_add_f64 v[77:78], v[54:55], v[50:51]
	v_add_f64 v[82:83], v[52:53], v[48:49]
	s_waitcnt lgkmcnt(5)
	v_add_f64 v[101:102], v[62:63], v[58:59]
	v_add_f64 v[103:104], v[60:61], v[56:57]
	v_add_f64 v[105:106], v[54:55], -v[50:51]
	v_add_f64 v[107:108], v[52:53], -v[48:49]
	;; [unrolled: 1-line block ×4, first 2 shown]
	s_waitcnt lgkmcnt(4)
	v_add_f64 v[52:53], v[64:65], v[52:53]
	v_add_f64 v[54:55], v[66:67], v[54:55]
	s_waitcnt lgkmcnt(3)
	v_add_f64 v[60:61], v[68:69], v[60:61]
	v_add_f64 v[62:63], v[70:71], v[62:63]
	;; [unrolled: 3-line block ×3, first 2 shown]
	v_add_f64 v[136:137], v[91:92], -v[87:88]
	v_add_f64 v[91:92], v[75:76], v[91:92]
	v_add_f64 v[121:122], v[73:74], v[89:90]
	v_fma_f64 v[77:78], v[77:78], -0.5, v[66:67]
	v_fma_f64 v[109:110], v[82:83], -0.5, v[64:65]
	;; [unrolled: 1-line block ×4, first 2 shown]
	v_lshrrev_b16 v83, 10, v93
	ds_read_b128 v[93:96], v129 offset:960
	ds_read_b128 v[97:100], v129 offset:1728
	;; [unrolled: 1-line block ×3, first 2 shown]
	v_cndmask_b32_e32 v82, v84, v128, vcc_lo
	v_add_f64 v[89:90], v[89:90], -v[85:86]
	v_mul_lo_u16 v84, v83, 6
	v_add_f64 v[52:53], v[52:53], v[48:49]
	v_add_f64 v[54:55], v[54:55], v[50:51]
	;; [unrolled: 1-line block ×4, first 2 shown]
	v_sub_nc_u16 v84, v72, v84
	v_mul_hi_i32_i24_e32 v147, 0x50, v82
	s_waitcnt lgkmcnt(0)
	v_fma_f64 v[68:69], v[119:120], -0.5, v[73:74]
	v_fma_f64 v[72:73], v[134:135], -0.5, v[75:76]
	s_barrier
	v_add_f64 v[87:88], v[91:92], v[87:88]
	v_add_f64 v[85:86], v[121:122], v[85:86]
	v_fma_f64 v[138:139], v[107:108], s[8:9], v[77:78]
	v_fma_f64 v[140:141], v[105:106], s[8:9], v[109:110]
	;; [unrolled: 1-line block ×4, first 2 shown]
	v_add_f64 v[107:108], v[93:94], v[97:98]
	v_add_f64 v[109:110], v[95:96], v[99:100]
	v_fma_f64 v[142:143], v[113:114], s[8:9], v[115:116]
	v_fma_f64 v[144:145], v[111:112], s[8:9], v[117:118]
	;; [unrolled: 1-line block ×4, first 2 shown]
	v_add_f64 v[64:65], v[101:102], v[93:94]
	v_add_f64 v[66:67], v[103:104], v[95:96]
	v_add_f64 v[70:71], v[95:96], -v[99:100]
	v_add_f64 v[74:75], v[93:94], -v[97:98]
	buffer_gl0_inv
	v_fma_f64 v[121:122], v[89:90], s[8:9], v[72:73]
	v_fma_f64 v[89:90], v[89:90], s[6:7], v[72:73]
	v_add_f64 v[50:51], v[87:88], v[54:55]
	v_add_f64 v[48:49], v[85:86], v[52:53]
	v_mul_f64 v[93:94], v[138:139], s[6:7]
	v_mul_f64 v[95:96], v[140:141], -0.5
	v_mul_f64 v[115:116], v[105:106], s[8:9]
	v_mul_f64 v[117:118], v[77:78], -0.5
	v_fma_f64 v[101:102], v[107:108], -0.5, v[101:102]
	v_fma_f64 v[103:104], v[109:110], -0.5, v[103:104]
	v_mul_f64 v[91:92], v[142:143], s[6:7]
	v_mul_f64 v[107:108], v[144:145], -0.5
	v_mul_f64 v[109:110], v[111:112], s[8:9]
	v_mul_f64 v[119:120], v[113:114], -0.5
	v_add_f64 v[64:65], v[64:65], v[97:98]
	v_add_f64 v[66:67], v[66:67], v[99:100]
	v_fma_f64 v[97:98], v[136:137], s[6:7], v[68:69]
	v_fma_f64 v[99:100], v[136:137], s[8:9], v[68:69]
	v_add_f64 v[52:53], v[85:86], -v[52:53]
	v_add_f64 v[54:55], v[87:88], -v[54:55]
	v_add_lshl_u32 v137, v81, v123, 4
	v_add_lshl_u32 v136, v81, v146, 4
	v_fma_f64 v[72:73], v[105:106], 0.5, v[93:94]
	v_fma_f64 v[76:77], v[77:78], s[6:7], v[95:96]
	v_fma_f64 v[78:79], v[138:139], 0.5, v[115:116]
	v_fma_f64 v[93:94], v[140:141], s[8:9], v[117:118]
	v_fma_f64 v[95:96], v[70:71], s[6:7], v[101:102]
	;; [unrolled: 1-line block ×3, first 2 shown]
	v_fma_f64 v[111:112], v[111:112], 0.5, v[91:92]
	v_fma_f64 v[101:102], v[70:71], s[8:9], v[101:102]
	v_fma_f64 v[109:110], v[142:143], 0.5, v[109:110]
	v_fma_f64 v[103:104], v[74:75], s[6:7], v[103:104]
	v_fma_f64 v[107:108], v[113:114], s[6:7], v[107:108]
	;; [unrolled: 1-line block ×3, first 2 shown]
	v_add_f64 v[56:57], v[64:65], v[60:61]
	v_add_f64 v[58:59], v[66:67], v[62:63]
	v_add_f64 v[60:61], v[64:65], -v[60:61]
	v_add_f64 v[62:63], v[66:67], -v[62:63]
	v_mul_i32_i24_e32 v115, 0x50, v82
	v_and_b32_e32 v116, 0xff, v84
	v_add_f64 v[64:65], v[97:98], v[72:73]
	v_add_f64 v[68:69], v[99:100], v[76:77]
	;; [unrolled: 1-line block ×4, first 2 shown]
	v_add_f64 v[72:73], v[97:98], -v[72:73]
	v_add_f64 v[74:75], v[121:122], -v[78:79]
	;; [unrolled: 1-line block ×4, first 2 shown]
	v_add_f64 v[85:86], v[95:96], v[111:112]
	v_add_f64 v[87:88], v[105:106], v[109:110]
	;; [unrolled: 1-line block ×4, first 2 shown]
	v_add_f64 v[93:94], v[95:96], -v[111:112]
	v_add_f64 v[95:96], v[105:106], -v[109:110]
	;; [unrolled: 1-line block ×4, first 2 shown]
	v_add_co_u32 v104, vcc_lo, s10, v115
	v_mad_u64_u32 v[134:135], null, 0x50, v116, s[10:11]
	v_add_co_ci_u32_e32 v105, vcc_lo, s11, v147, vcc_lo
	ds_write_b128 v137, v[48:51]
	ds_write_b128 v137, v[52:55] offset:48
	ds_write_b128 v137, v[64:67] offset:16
	;; [unrolled: 1-line block ×5, first 2 shown]
	ds_write_b128 v136, v[56:59]
	ds_write_b128 v136, v[85:88] offset:16
	ds_write_b128 v136, v[89:92] offset:32
	;; [unrolled: 1-line block ×5, first 2 shown]
	s_waitcnt lgkmcnt(0)
	s_barrier
	buffer_gl0_inv
	s_clause 0x9
	global_load_dwordx4 v[116:119], v[104:105], off offset:32
	global_load_dwordx4 v[120:123], v[104:105], off offset:64
	global_load_dwordx4 v[72:75], v[134:135], off offset:32
	global_load_dwordx4 v[112:115], v[134:135], off offset:64
	global_load_dwordx4 v[100:103], v[104:105], off
	global_load_dwordx4 v[76:79], v[134:135], off
	global_load_dwordx4 v[108:111], v[104:105], off offset:16
	global_load_dwordx4 v[104:107], v[104:105], off offset:48
	;; [unrolled: 1-line block ×4, first 2 shown]
	ds_read_b128 v[48:51], v129 offset:1152
	ds_read_b128 v[52:55], v129 offset:1920
	;; [unrolled: 1-line block ×10, first 2 shown]
	v_cmp_lt_u16_e32 vcc_lo, 5, v80
	v_mad_u16 v91, v83, 36, v84
	v_cndmask_b32_e64 v80, 0, 36, vcc_lo
	v_add_nc_u32_e32 v80, v82, v80
	v_and_b32_e32 v82, 0xff, v91
	s_waitcnt vmcnt(9) lgkmcnt(9)
	v_mul_f64 v[89:90], v[50:51], v[118:119]
	v_mul_f64 v[134:135], v[48:49], v[118:119]
	s_waitcnt vmcnt(8) lgkmcnt(8)
	v_mul_f64 v[150:151], v[52:53], v[122:123]
	v_mul_f64 v[152:153], v[54:55], v[122:123]
	;; [unrolled: 3-line block ×5, first 2 shown]
	s_waitcnt vmcnt(1) lgkmcnt(1)
	v_mul_f64 v[166:167], v[142:143], v[98:99]
	s_waitcnt vmcnt(0) lgkmcnt(0)
	v_mul_f64 v[168:169], v[146:147], v[94:95]
	v_fma_f64 v[89:90], v[48:49], v[116:117], -v[89:90]
	v_fma_f64 v[134:135], v[50:51], v[116:117], v[134:135]
	v_fma_f64 v[150:151], v[54:55], v[120:121], v[150:151]
	v_fma_f64 v[152:153], v[52:53], v[120:121], -v[152:153]
	v_mul_f64 v[48:49], v[70:71], v[78:79]
	v_mul_f64 v[50:51], v[68:69], v[78:79]
	v_fma_f64 v[56:57], v[56:57], v[72:73], -v[154:155]
	v_fma_f64 v[58:59], v[58:59], v[72:73], v[156:157]
	v_fma_f64 v[62:63], v[62:63], v[112:113], v[158:159]
	v_fma_f64 v[60:61], v[60:61], v[112:113], -v[160:161]
	v_mul_f64 v[52:53], v[87:88], v[110:111]
	v_mul_f64 v[54:55], v[85:86], v[110:111]
	v_mul_f64 v[154:155], v[140:141], v[106:107]
	v_mul_f64 v[156:157], v[138:139], v[106:107]
	v_mul_f64 v[158:159], v[144:145], v[98:99]
	v_mul_f64 v[160:161], v[148:149], v[94:95]
	v_fma_f64 v[64:65], v[64:65], v[100:101], -v[162:163]
	v_fma_f64 v[66:67], v[66:67], v[100:101], v[164:165]
	v_fma_f64 v[144:145], v[144:145], v[96:97], v[166:167]
	;; [unrolled: 1-line block ×3, first 2 shown]
	v_add_f64 v[162:163], v[134:135], v[150:151]
	v_add_f64 v[164:165], v[89:90], v[152:153]
	v_fma_f64 v[68:69], v[68:69], v[76:77], -v[48:49]
	v_fma_f64 v[70:71], v[70:71], v[76:77], v[50:51]
	ds_read_b128 v[48:51], v131
	v_add_f64 v[170:171], v[58:59], v[62:63]
	v_add_f64 v[172:173], v[56:57], v[60:61]
	v_fma_f64 v[85:86], v[85:86], v[108:109], -v[52:53]
	v_fma_f64 v[87:88], v[87:88], v[108:109], v[54:55]
	ds_read_b128 v[52:55], v129 offset:192
	v_fma_f64 v[138:139], v[138:139], v[104:105], -v[154:155]
	v_fma_f64 v[140:141], v[140:141], v[104:105], v[156:157]
	v_fma_f64 v[142:143], v[142:143], v[96:97], -v[158:159]
	v_fma_f64 v[146:147], v[146:147], v[92:93], -v[160:161]
	v_add_f64 v[154:155], v[134:135], -v[150:151]
	v_add_f64 v[156:157], v[89:90], -v[152:153]
	v_add_f64 v[178:179], v[144:145], v[148:149]
	s_waitcnt lgkmcnt(0)
	s_barrier
	buffer_gl0_inv
	v_fma_f64 v[158:159], v[162:163], -0.5, v[66:67]
	v_fma_f64 v[160:161], v[164:165], -0.5, v[64:65]
	v_add_f64 v[162:163], v[58:59], -v[62:63]
	v_add_f64 v[164:165], v[56:57], -v[60:61]
	v_add_f64 v[64:65], v[64:65], v[89:90]
	v_add_f64 v[66:67], v[66:67], v[134:135]
	v_fma_f64 v[166:167], v[170:171], -0.5, v[70:71]
	v_fma_f64 v[168:169], v[172:173], -0.5, v[68:69]
	v_add_f64 v[172:173], v[48:49], v[85:86]
	v_add_f64 v[134:135], v[54:55], v[144:145]
	;; [unrolled: 1-line block ×5, first 2 shown]
	v_add_f64 v[85:86], v[85:86], -v[138:139]
	v_add_f64 v[176:177], v[142:143], v[146:147]
	v_add_f64 v[89:90], v[52:53], v[142:143]
	;; [unrolled: 1-line block ×3, first 2 shown]
	v_add_f64 v[68:69], v[144:145], -v[148:149]
	v_add_f64 v[70:71], v[142:143], -v[146:147]
	v_fma_f64 v[54:55], v[178:179], -0.5, v[54:55]
	v_fma_f64 v[180:181], v[156:157], s[8:9], v[158:159]
	v_fma_f64 v[182:183], v[154:155], s[8:9], v[160:161]
	;; [unrolled: 1-line block ×4, first 2 shown]
	v_add_f64 v[158:159], v[50:51], v[87:88]
	v_add_f64 v[87:88], v[87:88], -v[140:141]
	v_fma_f64 v[160:161], v[164:165], s[8:9], v[166:167]
	v_fma_f64 v[184:185], v[162:163], s[8:9], v[168:169]
	;; [unrolled: 1-line block ×4, first 2 shown]
	v_add_f64 v[138:139], v[172:173], v[138:139]
	v_fma_f64 v[48:49], v[170:171], -0.5, v[48:49]
	v_fma_f64 v[50:51], v[174:175], -0.5, v[50:51]
	v_add_f64 v[64:65], v[64:65], v[152:153]
	v_fma_f64 v[52:53], v[176:177], -0.5, v[52:53]
	v_add_f64 v[66:67], v[66:67], v[150:151]
	v_add_f64 v[89:90], v[89:90], v[146:147]
	;; [unrolled: 1-line block ×5, first 2 shown]
	v_mul_f64 v[142:143], v[180:181], s[6:7]
	v_mul_f64 v[144:145], v[182:183], -0.5
	v_mul_f64 v[166:167], v[154:155], s[8:9]
	v_mul_f64 v[168:169], v[156:157], -0.5
	v_add_f64 v[140:141], v[158:159], v[140:141]
	v_mul_f64 v[158:159], v[160:161], s[6:7]
	v_mul_f64 v[170:171], v[184:185], -0.5
	v_mul_f64 v[172:173], v[162:163], s[8:9]
	v_mul_f64 v[174:175], v[164:165], -0.5
	v_fma_f64 v[146:147], v[87:88], s[6:7], v[48:49]
	v_fma_f64 v[148:149], v[85:86], s[8:9], v[50:51]
	;; [unrolled: 1-line block ×5, first 2 shown]
	v_add_f64 v[48:49], v[138:139], v[64:65]
	v_add_f64 v[56:57], v[89:90], v[60:61]
	v_add_f64 v[60:61], v[89:90], -v[60:61]
	v_add_f64 v[58:59], v[134:135], v[62:63]
	v_add_f64 v[62:63], v[134:135], -v[62:63]
	v_fma_f64 v[85:86], v[154:155], 0.5, v[142:143]
	v_fma_f64 v[142:143], v[156:157], s[6:7], v[144:145]
	v_fma_f64 v[144:145], v[180:181], 0.5, v[166:167]
	v_fma_f64 v[154:155], v[182:183], s[8:9], v[168:169]
	v_fma_f64 v[166:167], v[70:71], s[8:9], v[54:55]
	;; [unrolled: 1-line block ×3, first 2 shown]
	v_fma_f64 v[158:159], v[162:163], 0.5, v[158:159]
	v_fma_f64 v[168:169], v[70:71], s[6:7], v[54:55]
	v_fma_f64 v[160:161], v[160:161], 0.5, v[172:173]
	v_fma_f64 v[162:163], v[164:165], s[6:7], v[170:171]
	v_fma_f64 v[164:165], v[184:185], s[8:9], v[174:175]
	v_add_f64 v[50:51], v[140:141], v[66:67]
	v_add_f64 v[52:53], v[138:139], -v[64:65]
	v_add_f64 v[54:55], v[140:141], -v[66:67]
	v_add_lshl_u32 v135, v81, v80, 4
	v_add_lshl_u32 v134, v81, v82, 4
	v_add_f64 v[64:65], v[146:147], v[85:86]
	v_add_f64 v[68:69], v[87:88], v[142:143]
	;; [unrolled: 1-line block ×4, first 2 shown]
	v_add_f64 v[83:84], v[146:147], -v[85:86]
	v_add_f64 v[85:86], v[148:149], -v[144:145]
	;; [unrolled: 1-line block ×4, first 2 shown]
	v_add_f64 v[138:139], v[152:153], v[158:159]
	v_add_f64 v[140:141], v[166:167], v[160:161]
	;; [unrolled: 1-line block ×4, first 2 shown]
	v_add_f64 v[146:147], v[152:153], -v[158:159]
	v_add_f64 v[148:149], v[166:167], -v[160:161]
	;; [unrolled: 1-line block ×4, first 2 shown]
	v_mad_u64_u32 v[154:155], null, v128, 48, s[10:11]
	ds_write_b128 v135, v[48:51]
	ds_write_b128 v135, v[52:55] offset:288
	ds_write_b128 v135, v[64:67] offset:96
	;; [unrolled: 1-line block ×5, first 2 shown]
	ds_write_b128 v134, v[56:59]
	ds_write_b128 v134, v[138:141] offset:96
	ds_write_b128 v134, v[142:145] offset:192
	;; [unrolled: 1-line block ×5, first 2 shown]
	s_waitcnt lgkmcnt(0)
	s_barrier
	buffer_gl0_inv
	s_clause 0x8
	global_load_dwordx4 v[56:59], v[154:155], off offset:480
	global_load_dwordx4 v[52:55], v[154:155], off offset:496
	;; [unrolled: 1-line block ×9, first 2 shown]
	ds_read_b128 v[138:141], v129 offset:576
	ds_read_b128 v[142:145], v129 offset:1152
	;; [unrolled: 1-line block ×10, first 2 shown]
	ds_read_b128 v[178:181], v131
	ds_read_b128 v[182:185], v129 offset:192
	s_waitcnt vmcnt(8) lgkmcnt(11)
	v_mul_f64 v[186:187], v[140:141], v[58:59]
	v_mul_f64 v[188:189], v[138:139], v[58:59]
	s_waitcnt vmcnt(7) lgkmcnt(10)
	v_mul_f64 v[190:191], v[144:145], v[54:55]
	v_mul_f64 v[192:193], v[142:143], v[54:55]
	s_waitcnt vmcnt(6) lgkmcnt(9)
	v_mul_f64 v[194:195], v[148:149], v[50:51]
	v_mul_f64 v[196:197], v[146:147], v[50:51]
	s_waitcnt vmcnt(5) lgkmcnt(8)
	v_mul_f64 v[198:199], v[152:153], v[70:71]
	v_mul_f64 v[200:201], v[150:151], v[70:71]
	s_waitcnt vmcnt(4) lgkmcnt(7)
	v_mul_f64 v[202:203], v[156:157], v[66:67]
	v_mul_f64 v[204:205], v[154:155], v[66:67]
	s_waitcnt vmcnt(3) lgkmcnt(6)
	v_mul_f64 v[206:207], v[160:161], v[62:63]
	v_mul_f64 v[208:209], v[158:159], v[62:63]
	s_waitcnt vmcnt(2) lgkmcnt(5)
	v_mul_f64 v[210:211], v[164:165], v[90:91]
	v_mul_f64 v[212:213], v[162:163], v[90:91]
	s_waitcnt vmcnt(1) lgkmcnt(4)
	v_mul_f64 v[214:215], v[168:169], v[86:87]
	v_mul_f64 v[216:217], v[166:167], v[86:87]
	s_waitcnt vmcnt(0) lgkmcnt(3)
	v_mul_f64 v[218:219], v[172:173], v[82:83]
	v_mul_f64 v[220:221], v[170:171], v[82:83]
	v_fma_f64 v[138:139], v[138:139], v[56:57], -v[186:187]
	v_fma_f64 v[140:141], v[140:141], v[56:57], v[188:189]
	v_fma_f64 v[142:143], v[142:143], v[52:53], -v[190:191]
	v_fma_f64 v[144:145], v[144:145], v[52:53], v[192:193]
	;; [unrolled: 2-line block ×9, first 2 shown]
	s_waitcnt lgkmcnt(1)
	v_add_f64 v[186:187], v[178:179], -v[142:143]
	v_add_f64 v[188:189], v[180:181], -v[144:145]
	;; [unrolled: 1-line block ×4, first 2 shown]
	s_waitcnt lgkmcnt(0)
	v_add_f64 v[190:191], v[182:183], -v[154:155]
	v_add_f64 v[192:193], v[184:185], -v[156:157]
	;; [unrolled: 1-line block ×8, first 2 shown]
	v_fma_f64 v[166:167], v[178:179], 2.0, -v[186:187]
	v_fma_f64 v[168:169], v[180:181], 2.0, -v[188:189]
	;; [unrolled: 1-line block ×4, first 2 shown]
	v_add_f64 v[138:139], v[186:187], -v[142:143]
	v_fma_f64 v[172:173], v[182:183], 2.0, -v[190:191]
	v_fma_f64 v[178:179], v[184:185], 2.0, -v[192:193]
	;; [unrolled: 1-line block ×4, first 2 shown]
	v_add_f64 v[148:149], v[192:193], v[148:149]
	v_fma_f64 v[180:181], v[174:175], 2.0, -v[194:195]
	v_fma_f64 v[184:185], v[176:177], 2.0, -v[196:197]
	;; [unrolled: 1-line block ×4, first 2 shown]
	v_add_f64 v[156:157], v[196:197], v[156:157]
	v_add_f64 v[142:143], v[166:167], -v[144:145]
	v_add_f64 v[144:145], v[168:169], -v[140:141]
	v_add_f64 v[140:141], v[188:189], v[146:147]
	v_add_f64 v[146:147], v[190:191], -v[154:155]
	v_add_f64 v[154:155], v[194:195], -v[158:159]
	v_add_f64 v[150:151], v[172:173], -v[150:151]
	v_add_f64 v[152:153], v[178:179], -v[152:153]
	v_add_f64 v[158:159], v[180:181], -v[160:161]
	v_add_f64 v[160:161], v[184:185], -v[162:163]
	v_fma_f64 v[162:163], v[186:187], 2.0, -v[138:139]
	v_fma_f64 v[166:167], v[166:167], 2.0, -v[142:143]
	;; [unrolled: 1-line block ×12, first 2 shown]
	ds_write_b128 v131, v[166:169]
	ds_write_b128 v129, v[162:165] offset:576
	ds_write_b128 v129, v[142:145] offset:1152
	;; [unrolled: 1-line block ×11, first 2 shown]
	s_waitcnt lgkmcnt(0)
	s_barrier
	buffer_gl0_inv
	global_load_dwordx4 v[138:141], v[125:126], off offset:256
	v_add_co_u32 v125, vcc_lo, 0x900, v132
	v_add_co_ci_u32_e32 v126, vcc_lo, 0, v133, vcc_lo
	s_clause 0x8
	global_load_dwordx4 v[142:145], v[125:126], off offset:384
	global_load_dwordx4 v[146:149], v[125:126], off offset:768
	;; [unrolled: 1-line block ×9, first 2 shown]
	v_add_co_u32 v132, vcc_lo, 0x1000, v132
	v_add_co_ci_u32_e32 v133, vcc_lo, 0, v133, vcc_lo
	s_clause 0x1
	global_load_dwordx4 v[178:181], v[125:126], off offset:1728
	global_load_dwordx4 v[182:185], v[132:133], off offset:320
	ds_read_b128 v[186:189], v131
	s_waitcnt vmcnt(11) lgkmcnt(0)
	v_mul_f64 v[125:126], v[188:189], v[140:141]
	v_mul_f64 v[132:133], v[186:187], v[140:141]
	v_fma_f64 v[186:187], v[186:187], v[138:139], -v[125:126]
	v_fma_f64 v[188:189], v[188:189], v[138:139], v[132:133]
	ds_write_b128 v131, v[186:189]
	ds_read_b128 v[138:141], v129 offset:384
	ds_read_b128 v[186:189], v129 offset:768
	;; [unrolled: 1-line block ×11, first 2 shown]
	s_waitcnt vmcnt(10) lgkmcnt(10)
	v_mul_f64 v[125:126], v[140:141], v[144:145]
	v_mul_f64 v[132:133], v[138:139], v[144:145]
	s_waitcnt vmcnt(9) lgkmcnt(9)
	v_mul_f64 v[144:145], v[188:189], v[148:149]
	v_mul_f64 v[148:149], v[186:187], v[148:149]
	;; [unrolled: 3-line block ×6, first 2 shown]
	s_waitcnt vmcnt(4) lgkmcnt(4)
	v_mul_f64 v[234:235], v[208:209], v[168:169]
	v_fma_f64 v[138:139], v[138:139], v[142:143], -v[125:126]
	v_mul_f64 v[125:126], v[206:207], v[168:169]
	v_fma_f64 v[140:141], v[140:141], v[142:143], v[132:133]
	s_waitcnt vmcnt(3) lgkmcnt(3)
	v_mul_f64 v[132:133], v[212:213], v[172:173]
	v_mul_f64 v[168:169], v[210:211], v[172:173]
	s_waitcnt vmcnt(2) lgkmcnt(2)
	v_mul_f64 v[172:173], v[216:217], v[176:177]
	v_mul_f64 v[176:177], v[214:215], v[176:177]
	v_fma_f64 v[142:143], v[186:187], v[146:147], -v[144:145]
	s_waitcnt vmcnt(1) lgkmcnt(1)
	v_mul_f64 v[186:187], v[220:221], v[180:181]
	v_mul_f64 v[180:181], v[218:219], v[180:181]
	v_fma_f64 v[144:145], v[188:189], v[146:147], v[148:149]
	s_waitcnt vmcnt(0) lgkmcnt(0)
	v_mul_f64 v[188:189], v[224:225], v[184:185]
	v_mul_f64 v[184:185], v[222:223], v[184:185]
	v_fma_f64 v[146:147], v[190:191], v[150:151], -v[226:227]
	v_fma_f64 v[148:149], v[192:193], v[150:151], v[152:153]
	v_fma_f64 v[150:151], v[194:195], v[154:155], -v[228:229]
	v_fma_f64 v[152:153], v[196:197], v[154:155], v[156:157]
	;; [unrolled: 2-line block ×9, first 2 shown]
	ds_write_b128 v129, v[138:141] offset:384
	ds_write_b128 v129, v[142:145] offset:768
	;; [unrolled: 1-line block ×11, first 2 shown]
	s_waitcnt lgkmcnt(0)
	s_barrier
	buffer_gl0_inv
	ds_read_b128 v[138:141], v129 offset:1920
	ds_read_b128 v[142:145], v129 offset:1152
	;; [unrolled: 1-line block ×6, first 2 shown]
	ds_read_b128 v[162:165], v131
	ds_read_b128 v[166:169], v129 offset:768
	ds_read_b128 v[170:173], v129 offset:1536
	;; [unrolled: 1-line block ×5, first 2 shown]
	s_waitcnt lgkmcnt(0)
	s_barrier
	buffer_gl0_inv
	v_add_f64 v[125:126], v[144:145], v[140:141]
	v_add_f64 v[186:187], v[142:143], v[138:139]
	;; [unrolled: 1-line block ×3, first 2 shown]
	v_add_f64 v[188:189], v[142:143], -v[138:139]
	v_add_f64 v[190:191], v[146:147], v[150:151]
	v_add_f64 v[192:193], v[146:147], -v[150:151]
	v_add_f64 v[194:195], v[162:163], v[166:167]
	v_add_f64 v[196:197], v[164:165], v[168:169]
	;; [unrolled: 1-line block ×5, first 2 shown]
	v_add_f64 v[202:203], v[144:145], -v[140:141]
	v_add_f64 v[144:145], v[156:157], v[144:145]
	v_add_f64 v[204:205], v[148:149], -v[152:153]
	v_add_f64 v[168:169], v[168:169], -v[172:173]
	;; [unrolled: 1-line block ×3, first 2 shown]
	v_add_f64 v[146:147], v[158:159], v[146:147]
	v_add_f64 v[148:149], v[160:161], v[148:149]
	;; [unrolled: 1-line block ×3, first 2 shown]
	v_fma_f64 v[125:126], v[125:126], -0.5, v[156:157]
	v_fma_f64 v[154:155], v[186:187], -0.5, v[154:155]
	;; [unrolled: 1-line block ×3, first 2 shown]
	v_add_f64 v[156:157], v[174:175], v[178:179]
	v_fma_f64 v[190:191], v[190:191], -0.5, v[158:159]
	v_add_f64 v[174:175], v[174:175], -v[178:179]
	v_add_f64 v[158:159], v[194:195], v[170:171]
	v_add_f64 v[160:161], v[196:197], v[172:173]
	v_add_f64 v[142:143], v[142:143], v[138:139]
	v_fma_f64 v[162:163], v[198:199], -0.5, v[162:163]
	v_fma_f64 v[164:165], v[200:201], -0.5, v[164:165]
	v_add_f64 v[144:145], v[144:145], v[140:141]
	v_add_f64 v[150:151], v[146:147], v[150:151]
	;; [unrolled: 1-line block ×4, first 2 shown]
	v_fma_f64 v[186:187], v[188:189], s[6:7], v[125:126]
	v_fma_f64 v[125:126], v[188:189], s[8:9], v[125:126]
	v_add_f64 v[188:189], v[176:177], v[180:181]
	v_fma_f64 v[206:207], v[192:193], s[6:7], v[132:133]
	v_fma_f64 v[132:133], v[192:193], s[8:9], v[132:133]
	v_add_f64 v[192:193], v[184:185], v[176:177]
	v_fma_f64 v[170:171], v[202:203], s[8:9], v[154:155]
	v_fma_f64 v[156:157], v[156:157], -0.5, v[182:183]
	v_fma_f64 v[154:155], v[202:203], s[6:7], v[154:155]
	v_add_f64 v[176:177], v[176:177], -v[180:181]
	v_fma_f64 v[200:201], v[166:167], s[6:7], v[164:165]
	v_add_f64 v[138:139], v[158:159], v[142:143]
	v_add_f64 v[140:141], v[160:161], v[144:145]
	v_add_f64 v[142:143], v[158:159], -v[142:143]
	v_add_f64 v[144:145], v[160:161], -v[144:145]
	v_add_f64 v[146:147], v[178:179], v[150:151]
	v_add_f64 v[150:151], v[178:179], -v[150:151]
	v_mul_f64 v[172:173], v[186:187], s[8:9]
	v_mul_f64 v[186:187], v[186:187], 0.5
	v_mul_f64 v[182:183], v[125:126], s[8:9]
	v_mul_f64 v[125:126], v[125:126], -0.5
	v_fma_f64 v[184:185], v[188:189], -0.5, v[184:185]
	v_fma_f64 v[188:189], v[204:205], s[8:9], v[190:191]
	v_mul_f64 v[194:195], v[206:207], s[8:9]
	v_mul_f64 v[196:197], v[206:207], 0.5
	v_fma_f64 v[190:191], v[204:205], s[6:7], v[190:191]
	v_mul_f64 v[198:199], v[132:133], s[8:9]
	v_mul_f64 v[132:133], v[132:133], -0.5
	v_add_f64 v[180:181], v[192:193], v[180:181]
	v_fma_f64 v[192:193], v[168:169], s[8:9], v[162:163]
	v_fma_f64 v[168:169], v[168:169], s[6:7], v[162:163]
	;; [unrolled: 1-line block ×3, first 2 shown]
	v_fma_f64 v[162:163], v[170:171], 0.5, v[172:173]
	v_fma_f64 v[170:171], v[170:171], s[6:7], v[186:187]
	v_fma_f64 v[172:173], v[166:167], s[8:9], v[164:165]
	v_fma_f64 v[166:167], v[154:155], -0.5, v[182:183]
	v_fma_f64 v[125:126], v[154:155], s[6:7], v[125:126]
	v_fma_f64 v[186:187], v[176:177], s[8:9], v[156:157]
	;; [unrolled: 1-line block ×3, first 2 shown]
	v_fma_f64 v[176:177], v[188:189], 0.5, v[194:195]
	v_fma_f64 v[188:189], v[188:189], s[6:7], v[196:197]
	v_fma_f64 v[184:185], v[174:175], s[8:9], v[184:185]
	v_fma_f64 v[194:195], v[190:191], -0.5, v[198:199]
	v_fma_f64 v[132:133], v[190:191], s[6:7], v[132:133]
	v_add_f64 v[148:149], v[180:181], v[152:153]
	v_add_f64 v[152:153], v[180:181], -v[152:153]
	v_add_f64 v[154:155], v[192:193], v[162:163]
	v_add_f64 v[156:157], v[200:201], v[170:171]
	v_add_f64 v[158:159], v[192:193], -v[162:163]
	v_add_f64 v[162:163], v[168:169], v[166:167]
	v_add_f64 v[164:165], v[172:173], v[125:126]
	v_add_f64 v[160:161], v[200:201], -v[170:171]
	v_add_f64 v[166:167], v[168:169], -v[166:167]
	;; [unrolled: 1-line block ×3, first 2 shown]
	v_add_f64 v[170:171], v[186:187], v[176:177]
	v_add_f64 v[172:173], v[182:183], v[188:189]
	;; [unrolled: 1-line block ×4, first 2 shown]
	v_add_f64 v[174:175], v[186:187], -v[176:177]
	v_add_f64 v[176:177], v[182:183], -v[188:189]
	;; [unrolled: 1-line block ×4, first 2 shown]
	ds_write_b128 v137, v[138:141]
	ds_write_b128 v137, v[142:145] offset:48
	ds_write_b128 v137, v[154:157] offset:16
	;; [unrolled: 1-line block ×5, first 2 shown]
	ds_write_b128 v136, v[146:149]
	ds_write_b128 v136, v[170:173] offset:16
	ds_write_b128 v136, v[178:181] offset:32
	;; [unrolled: 1-line block ×5, first 2 shown]
	s_waitcnt lgkmcnt(0)
	s_barrier
	buffer_gl0_inv
	ds_read_b128 v[136:139], v129 offset:1152
	ds_read_b128 v[140:143], v129 offset:1920
	ds_read_b128 v[144:147], v129 offset:1344
	ds_read_b128 v[148:151], v129 offset:2112
	ds_read_b128 v[152:155], v129 offset:384
	ds_read_b128 v[156:159], v129 offset:576
	ds_read_b128 v[160:163], v129 offset:768
	ds_read_b128 v[164:167], v129 offset:1536
	ds_read_b128 v[168:171], v129 offset:960
	ds_read_b128 v[172:175], v129 offset:1728
	s_waitcnt lgkmcnt(9)
	v_mul_f64 v[125:126], v[118:119], v[136:137]
	s_waitcnt lgkmcnt(8)
	v_mul_f64 v[132:133], v[122:123], v[140:141]
	;; [unrolled: 2-line block ×4, first 2 shown]
	v_mul_f64 v[118:119], v[118:119], v[138:139]
	v_mul_f64 v[122:123], v[122:123], v[142:143]
	s_waitcnt lgkmcnt(5)
	v_mul_f64 v[180:181], v[102:103], v[152:153]
	v_mul_f64 v[74:75], v[74:75], v[146:147]
	;; [unrolled: 1-line block ×4, first 2 shown]
	v_fma_f64 v[125:126], v[116:117], v[138:139], -v[125:126]
	v_fma_f64 v[132:133], v[120:121], v[142:143], -v[132:133]
	s_waitcnt lgkmcnt(4)
	v_mul_f64 v[138:139], v[78:79], v[156:157]
	v_fma_f64 v[142:143], v[72:73], v[146:147], -v[176:177]
	v_fma_f64 v[146:147], v[112:113], v[150:151], -v[178:179]
	s_waitcnt lgkmcnt(3)
	v_mul_f64 v[150:151], v[110:111], v[162:163]
	v_mul_f64 v[110:111], v[110:111], v[160:161]
	s_waitcnt lgkmcnt(2)
	v_mul_f64 v[176:177], v[106:107], v[166:167]
	v_mul_f64 v[106:107], v[106:107], v[164:165]
	v_fma_f64 v[116:117], v[116:117], v[136:137], v[118:119]
	v_fma_f64 v[118:119], v[120:121], v[140:141], v[122:123]
	v_fma_f64 v[120:121], v[100:101], v[154:155], -v[180:181]
	s_waitcnt lgkmcnt(1)
	v_mul_f64 v[178:179], v[98:99], v[170:171]
	v_mul_f64 v[98:99], v[98:99], v[168:169]
	s_waitcnt lgkmcnt(0)
	v_mul_f64 v[136:137], v[94:95], v[174:175]
	v_mul_f64 v[94:95], v[94:95], v[172:173]
	;; [unrolled: 1-line block ×3, first 2 shown]
	v_fma_f64 v[140:141], v[72:73], v[144:145], v[74:75]
	v_fma_f64 v[112:113], v[112:113], v[148:149], v[114:115]
	;; [unrolled: 1-line block ×3, first 2 shown]
	ds_read_b128 v[72:75], v131
	v_add_f64 v[122:123], v[125:126], v[132:133]
	v_fma_f64 v[114:115], v[76:77], v[158:159], -v[138:139]
	v_add_f64 v[138:139], v[142:143], v[146:147]
	v_fma_f64 v[144:145], v[108:109], v[160:161], v[150:151]
	v_fma_f64 v[108:109], v[108:109], v[162:163], -v[110:111]
	v_fma_f64 v[110:111], v[104:105], v[164:165], v[176:177]
	v_fma_f64 v[104:105], v[104:105], v[166:167], -v[106:107]
	v_add_f64 v[160:161], v[125:126], -v[132:133]
	v_add_f64 v[102:103], v[116:117], v[118:119]
	v_add_f64 v[106:107], v[116:117], -v[118:119]
	v_fma_f64 v[148:149], v[96:97], v[168:169], v[178:179]
	v_fma_f64 v[96:97], v[96:97], v[170:171], -v[98:99]
	v_fma_f64 v[98:99], v[92:93], v[172:173], v[136:137]
	v_fma_f64 v[92:93], v[92:93], v[174:175], -v[94:95]
	v_fma_f64 v[94:95], v[76:77], v[156:157], v[78:79]
	ds_read_b128 v[76:79], v129 offset:192
	v_add_f64 v[136:137], v[140:141], v[112:113]
	v_add_f64 v[150:151], v[140:141], -v[112:113]
	v_add_f64 v[164:165], v[142:143], -v[146:147]
	s_waitcnt lgkmcnt(0)
	s_barrier
	v_fma_f64 v[122:123], v[122:123], -0.5, v[120:121]
	v_add_f64 v[120:121], v[120:121], v[125:126]
	buffer_gl0_inv
	v_fma_f64 v[138:139], v[138:139], -0.5, v[114:115]
	v_add_f64 v[152:153], v[72:73], v[144:145]
	v_add_f64 v[158:159], v[74:75], v[108:109]
	;; [unrolled: 1-line block ×3, first 2 shown]
	v_add_f64 v[156:157], v[108:109], -v[104:105]
	v_add_f64 v[108:109], v[108:109], v[104:105]
	v_fma_f64 v[102:103], v[102:103], -0.5, v[100:101]
	v_add_f64 v[100:101], v[100:101], v[116:117]
	v_add_f64 v[144:145], v[144:145], -v[110:111]
	v_add_f64 v[114:115], v[114:115], v[142:143]
	v_add_f64 v[116:117], v[148:149], v[98:99]
	v_add_f64 v[166:167], v[96:97], -v[92:93]
	v_fma_f64 v[136:137], v[136:137], -0.5, v[94:95]
	v_add_f64 v[94:95], v[94:95], v[140:141]
	v_fma_f64 v[162:163], v[106:107], s[6:7], v[122:123]
	v_fma_f64 v[106:107], v[106:107], s[8:9], v[122:123]
	v_add_f64 v[122:123], v[96:97], v[92:93]
	v_fma_f64 v[125:126], v[150:151], s[6:7], v[138:139]
	v_fma_f64 v[138:139], v[150:151], s[8:9], v[138:139]
	v_add_f64 v[150:151], v[76:77], v[148:149]
	v_add_f64 v[110:111], v[152:153], v[110:111]
	v_fma_f64 v[72:73], v[154:155], -0.5, v[72:73]
	v_fma_f64 v[74:75], v[108:109], -0.5, v[74:75]
	v_fma_f64 v[108:109], v[160:161], s[8:9], v[102:103]
	v_fma_f64 v[102:103], v[160:161], s[6:7], v[102:103]
	v_add_f64 v[96:97], v[78:79], v[96:97]
	v_add_f64 v[148:149], v[148:149], -v[98:99]
	v_fma_f64 v[76:77], v[116:117], -0.5, v[76:77]
	v_add_f64 v[104:105], v[158:159], v[104:105]
	v_add_f64 v[100:101], v[100:101], v[118:119]
	;; [unrolled: 1-line block ×3, first 2 shown]
	v_fma_f64 v[116:117], v[164:165], s[8:9], v[136:137]
	v_add_f64 v[114:115], v[114:115], v[146:147]
	v_add_f64 v[112:113], v[94:95], v[112:113]
	v_mul_f64 v[140:141], v[162:163], s[8:9]
	v_mul_f64 v[152:153], v[162:163], 0.5
	v_mul_f64 v[142:143], v[106:107], s[8:9]
	v_mul_f64 v[106:107], v[106:107], -0.5
	v_fma_f64 v[78:79], v[122:123], -0.5, v[78:79]
	v_fma_f64 v[122:123], v[164:165], s[6:7], v[136:137]
	v_mul_f64 v[136:137], v[125:126], s[8:9]
	v_mul_f64 v[125:126], v[125:126], 0.5
	v_mul_f64 v[154:155], v[138:139], s[8:9]
	v_mul_f64 v[138:139], v[138:139], -0.5
	v_add_f64 v[120:121], v[150:151], v[98:99]
	v_fma_f64 v[146:147], v[156:157], s[8:9], v[72:73]
	v_fma_f64 v[150:151], v[144:145], s[6:7], v[74:75]
	;; [unrolled: 1-line block ×4, first 2 shown]
	v_add_f64 v[132:133], v[96:97], v[92:93]
	v_fma_f64 v[158:159], v[166:167], s[8:9], v[76:77]
	v_fma_f64 v[160:161], v[166:167], s[6:7], v[76:77]
	v_add_f64 v[74:75], v[110:111], v[100:101]
	v_add_f64 v[76:77], v[104:105], v[118:119]
	v_add_f64 v[92:93], v[110:111], -v[100:101]
	v_add_f64 v[94:95], v[104:105], -v[118:119]
	v_fma_f64 v[140:141], v[108:109], 0.5, v[140:141]
	v_fma_f64 v[152:153], v[108:109], s[6:7], v[152:153]
	v_fma_f64 v[142:143], v[102:103], -0.5, v[142:143]
	v_fma_f64 v[156:157], v[102:103], s[6:7], v[106:107]
	v_fma_f64 v[162:163], v[148:149], s[6:7], v[78:79]
	v_fma_f64 v[78:79], v[148:149], s[8:9], v[78:79]
	v_fma_f64 v[148:149], v[116:117], 0.5, v[136:137]
	v_fma_f64 v[125:126], v[116:117], s[6:7], v[125:126]
	v_fma_f64 v[154:155], v[122:123], -0.5, v[154:155]
	v_fma_f64 v[164:165], v[122:123], s[6:7], v[138:139]
	v_add_f64 v[96:97], v[120:121], v[112:113]
	v_add_f64 v[100:101], v[120:121], -v[112:113]
	s_mul_hi_u32 s7, s0, 0x180
	s_mul_i32 s6, s0, 0x180
	v_add_f64 v[98:99], v[132:133], v[114:115]
	v_add_f64 v[102:103], v[132:133], -v[114:115]
	v_add_f64 v[104:105], v[146:147], v[140:141]
	v_add_f64 v[106:107], v[150:151], v[152:153]
	v_add_f64 v[108:109], v[72:73], v[142:143]
	v_add_f64 v[110:111], v[144:145], v[156:157]
	v_add_f64 v[112:113], v[146:147], -v[140:141]
	v_add_f64 v[114:115], v[150:151], -v[152:153]
	v_add_f64 v[116:117], v[72:73], -v[142:143]
	v_add_f64 v[118:119], v[144:145], -v[156:157]
	v_add_f64 v[120:121], v[158:159], v[148:149]
	v_add_f64 v[122:123], v[162:163], v[125:126]
	;; [unrolled: 1-line block ×4, first 2 shown]
	v_add_f64 v[140:141], v[158:159], -v[148:149]
	v_add_f64 v[142:143], v[162:163], -v[125:126]
	;; [unrolled: 1-line block ×4, first 2 shown]
	ds_write_b128 v135, v[74:77]
	ds_write_b128 v135, v[92:95] offset:288
	ds_write_b128 v135, v[104:107] offset:96
	;; [unrolled: 1-line block ×5, first 2 shown]
	ds_write_b128 v134, v[96:99]
	ds_write_b128 v134, v[120:123] offset:96
	ds_write_b128 v134, v[136:139] offset:192
	ds_write_b128 v134, v[100:103] offset:288
	ds_write_b128 v134, v[140:143] offset:384
	ds_write_b128 v134, v[144:147] offset:480
	s_waitcnt lgkmcnt(0)
	s_barrier
	buffer_gl0_inv
	ds_read_b128 v[74:77], v129 offset:576
	ds_read_b128 v[92:95], v129 offset:1152
	ds_read_b128 v[96:99], v129 offset:1728
	ds_read_b128 v[100:103], v129 offset:768
	ds_read_b128 v[104:107], v129 offset:1344
	ds_read_b128 v[108:111], v129 offset:1920
	ds_read_b128 v[112:115], v129 offset:960
	ds_read_b128 v[116:119], v129 offset:1536
	ds_read_b128 v[120:123], v129 offset:2112
	v_mad_u64_u32 v[72:73], null, s2, v124, 0
	v_mad_u64_u32 v[78:79], null, s0, v128, 0
	ds_read_b128 v[132:135], v129 offset:384
	s_mul_i32 s2, s1, 0x180
	s_waitcnt lgkmcnt(9)
	v_mul_f64 v[140:141], v[58:59], v[76:77]
	v_mul_f64 v[58:59], v[58:59], v[74:75]
	s_waitcnt lgkmcnt(8)
	v_mul_f64 v[142:143], v[54:55], v[94:95]
	v_mul_f64 v[54:55], v[54:55], v[92:93]
	;; [unrolled: 3-line block ×9, first 2 shown]
	v_mad_u64_u32 v[124:125], null, s3, v124, v[73:74]
	v_mov_b32_e32 v73, v79
	v_mad_u64_u32 v[125:126], null, s1, v128, v[73:74]
	v_mov_b32_e32 v73, v124
	v_fma_f64 v[74:75], v[56:57], v[74:75], v[140:141]
	v_fma_f64 v[56:57], v[56:57], v[76:77], -v[58:59]
	v_fma_f64 v[58:59], v[52:53], v[92:93], v[142:143]
	v_fma_f64 v[54:55], v[52:53], v[94:95], -v[54:55]
	;; [unrolled: 2-line block ×3, first 2 shown]
	v_mov_b32_e32 v79, v125
	v_lshlrev_b64 v[124:125], 4, v[72:73]
	ds_read_b128 v[70:73], v131
	ds_read_b128 v[136:139], v129 offset:192
	v_fma_f64 v[92:93], v[68:69], v[100:101], v[146:147]
	v_fma_f64 v[68:69], v[68:69], v[102:103], -v[148:149]
	v_fma_f64 v[94:95], v[64:65], v[104:105], v[150:151]
	v_fma_f64 v[64:65], v[64:65], v[106:107], -v[66:67]
	;; [unrolled: 2-line block ×6, first 2 shown]
	v_lshlrev_b64 v[48:49], 4, v[78:79]
	v_mad_u64_u32 v[102:103], null, s0, v130, 0
	v_add_co_u32 v52, vcc_lo, s4, v124
	v_add_co_ci_u32_e32 v53, vcc_lo, s5, v125, vcc_lo
	s_waitcnt lgkmcnt(1)
	v_add_f64 v[78:79], v[70:71], -v[58:59]
	v_add_f64 v[82:83], v[72:73], -v[54:55]
	v_add_f64 v[58:59], v[74:75], -v[76:77]
	v_add_f64 v[54:55], v[56:57], -v[50:51]
	v_add_co_u32 v48, vcc_lo, v52, v48
	s_waitcnt lgkmcnt(0)
	v_add_f64 v[94:95], v[136:137], -v[94:95]
	v_add_f64 v[96:97], v[138:139], -v[64:65]
	;; [unrolled: 1-line block ×4, first 2 shown]
	v_add_co_ci_u32_e32 v49, vcc_lo, v53, v49, vcc_lo
	v_add_f64 v[98:99], v[132:133], -v[90:91]
	v_add_f64 v[100:101], v[134:135], -v[84:85]
	v_add_f64 v[76:77], v[62:63], -v[86:87]
	v_add_f64 v[80:81], v[88:89], -v[80:81]
	v_mad_u64_u32 v[84:85], null, s0, v127, 0
	s_add_i32 s4, s7, s2
	v_add_co_u32 v50, vcc_lo, v48, s6
	v_add_co_ci_u32_e32 v51, vcc_lo, s4, v49, vcc_lo
	v_fma_f64 v[86:87], v[70:71], 2.0, -v[78:79]
	v_fma_f64 v[90:91], v[72:73], 2.0, -v[82:83]
	;; [unrolled: 1-line block ×4, first 2 shown]
	v_mov_b32_e32 v56, v85
	v_fma_f64 v[106:107], v[136:137], 2.0, -v[94:95]
	v_fma_f64 v[108:109], v[138:139], 2.0, -v[96:97]
	v_fma_f64 v[72:73], v[92:93], 2.0, -v[64:65]
	v_fma_f64 v[68:69], v[68:69], 2.0, -v[66:67]
	v_mov_b32_e32 v57, v103
	v_add_f64 v[54:55], v[78:79], v[54:55]
	v_fma_f64 v[110:111], v[132:133], 2.0, -v[98:99]
	v_fma_f64 v[112:113], v[134:135], 2.0, -v[100:101]
	;; [unrolled: 1-line block ×4, first 2 shown]
	v_mad_u64_u32 v[92:93], null, s1, v127, v[56:57]
	v_mad_u64_u32 v[114:115], null, s1, v130, v[57:58]
	v_add_f64 v[56:57], v[82:83], -v[58:59]
	v_add_f64 v[62:63], v[94:95], v[66:67]
	v_add_f64 v[64:65], v[96:97], -v[64:65]
	v_mad_u64_u32 v[104:105], null, 0x300, s0, v[50:51]
	v_add_f64 v[58:59], v[86:87], -v[60:61]
	v_add_f64 v[60:61], v[90:91], -v[70:71]
	v_add_f64 v[70:71], v[98:99], v[80:81]
	v_mov_b32_e32 v85, v92
	s_mul_i32 s2, s1, 0x300
	v_add_f64 v[66:67], v[106:107], -v[72:73]
	v_add_f64 v[68:69], v[108:109], -v[68:69]
	;; [unrolled: 1-line block ×3, first 2 shown]
	v_lshlrev_b64 v[117:118], 4, v[84:85]
	v_fma_f64 v[78:79], v[78:79], 2.0, -v[54:55]
	v_add_nc_u32_e32 v105, s2, v105
	v_add_f64 v[74:75], v[110:111], -v[74:75]
	v_add_f64 v[76:77], v[112:113], -v[88:89]
	s_mulk_i32 s1, 0xf940
	v_mov_b32_e32 v103, v114
	v_mad_u64_u32 v[115:116], null, 0x300, s0, v[104:105]
	v_fma_f64 v[80:81], v[82:83], 2.0, -v[56:57]
	v_fma_f64 v[88:89], v[96:97], 2.0, -v[64:65]
	v_lshlrev_b64 v[102:103], 4, v[102:103]
	v_fma_f64 v[82:83], v[86:87], 2.0, -v[58:59]
	v_fma_f64 v[84:85], v[90:91], 2.0, -v[60:61]
	;; [unrolled: 1-line block ×4, first 2 shown]
	v_add_nc_u32_e32 v116, s2, v116
	v_fma_f64 v[90:91], v[106:107], 2.0, -v[66:67]
	v_fma_f64 v[92:93], v[108:109], 2.0, -v[68:69]
	;; [unrolled: 1-line block ×3, first 2 shown]
	v_add_co_u32 v106, vcc_lo, v52, v117
	v_add_co_ci_u32_e32 v107, vcc_lo, v53, v118, vcc_lo
	v_fma_f64 v[98:99], v[110:111], 2.0, -v[74:75]
	v_fma_f64 v[100:101], v[112:113], 2.0, -v[76:77]
	ds_write_b128 v131, v[82:85]
	ds_write_b128 v129, v[78:81] offset:576
	ds_write_b128 v129, v[58:61] offset:1152
	;; [unrolled: 1-line block ×11, first 2 shown]
	s_waitcnt lgkmcnt(0)
	s_barrier
	buffer_gl0_inv
	ds_read_b128 v[54:57], v131
	ds_read_b128 v[58:61], v129 offset:384
	ds_read_b128 v[62:65], v129 offset:768
	;; [unrolled: 1-line block ×11, first 2 shown]
	v_mad_u64_u32 v[119:120], null, 0xfffff940, s0, v[115:116]
	s_sub_i32 s0, s1, s0
	s_mov_b32 s2, 0x1c71c71c
	s_mov_b32 s3, 0x3f7c71c7
	v_add_nc_u32_e32 v120, s0, v120
	v_add_co_u32 v108, vcc_lo, v119, s6
	v_add_co_ci_u32_e32 v109, vcc_lo, s4, v120, vcc_lo
	s_waitcnt lgkmcnt(11)
	v_mul_f64 v[117:118], v[14:15], v[56:57]
	v_mul_f64 v[14:15], v[14:15], v[54:55]
	s_waitcnt lgkmcnt(10)
	v_mul_f64 v[121:122], v[22:23], v[60:61]
	v_mul_f64 v[22:23], v[22:23], v[58:59]
	;; [unrolled: 3-line block ×12, first 2 shown]
	v_fma_f64 v[54:55], v[12:13], v[54:55], v[117:118]
	v_fma_f64 v[12:13], v[12:13], v[56:57], -v[14:15]
	v_fma_f64 v[14:15], v[20:21], v[58:59], v[121:122]
	v_fma_f64 v[20:21], v[20:21], v[60:61], -v[22:23]
	;; [unrolled: 2-line block ×12, first 2 shown]
	v_mul_f64 v[0:1], v[54:55], s[2:3]
	v_mul_f64 v[2:3], v[12:13], s[2:3]
	;; [unrolled: 1-line block ×8, first 2 shown]
	v_add_co_u32 v110, vcc_lo, v108, s6
	v_mul_f64 v[16:17], v[38:39], s[2:3]
	v_mul_f64 v[18:19], v[56:57], s[2:3]
	;; [unrolled: 1-line block ×4, first 2 shown]
	v_add_co_ci_u32_e32 v111, vcc_lo, s4, v109, vcc_lo
	v_mul_f64 v[24:25], v[62:63], s[2:3]
	v_mul_f64 v[26:27], v[64:65], s[2:3]
	;; [unrolled: 1-line block ×6, first 2 shown]
	v_add_co_u32 v112, vcc_lo, v110, s6
	v_mul_f64 v[36:37], v[74:75], s[2:3]
	v_mul_f64 v[38:39], v[76:77], s[2:3]
	v_mul_f64 v[40:41], v[78:79], s[2:3]
	v_mul_f64 v[42:43], v[42:43], s[2:3]
	v_add_co_ci_u32_e32 v113, vcc_lo, s4, v111, vcc_lo
	v_mul_f64 v[44:45], v[80:81], s[2:3]
	v_mul_f64 v[46:47], v[46:47], s[2:3]
	v_add_co_u32 v54, vcc_lo, v112, s6
	v_add_co_ci_u32_e32 v55, vcc_lo, s4, v113, vcc_lo
	v_add_co_u32 v52, vcc_lo, v52, v102
	v_add_co_ci_u32_e32 v53, vcc_lo, v53, v103, vcc_lo
	;; [unrolled: 2-line block ×3, first 2 shown]
	global_store_dwordx4 v[48:49], v[0:3], off
	global_store_dwordx4 v[50:51], v[4:7], off
	;; [unrolled: 1-line block ×12, first 2 shown]
.LBB0_2:
	s_endpgm
	.section	.rodata,"a",@progbits
	.p2align	6, 0x0
	.amdhsa_kernel bluestein_single_fwd_len144_dim1_dp_op_CI_CI
		.amdhsa_group_segment_fixed_size 23040
		.amdhsa_private_segment_fixed_size 0
		.amdhsa_kernarg_size 104
		.amdhsa_user_sgpr_count 6
		.amdhsa_user_sgpr_private_segment_buffer 1
		.amdhsa_user_sgpr_dispatch_ptr 0
		.amdhsa_user_sgpr_queue_ptr 0
		.amdhsa_user_sgpr_kernarg_segment_ptr 1
		.amdhsa_user_sgpr_dispatch_id 0
		.amdhsa_user_sgpr_flat_scratch_init 0
		.amdhsa_user_sgpr_private_segment_size 0
		.amdhsa_wavefront_size32 1
		.amdhsa_uses_dynamic_stack 0
		.amdhsa_system_sgpr_private_segment_wavefront_offset 0
		.amdhsa_system_sgpr_workgroup_id_x 1
		.amdhsa_system_sgpr_workgroup_id_y 0
		.amdhsa_system_sgpr_workgroup_id_z 0
		.amdhsa_system_sgpr_workgroup_info 0
		.amdhsa_system_vgpr_workitem_id 0
		.amdhsa_next_free_vgpr 236
		.amdhsa_next_free_sgpr 20
		.amdhsa_reserve_vcc 1
		.amdhsa_reserve_flat_scratch 0
		.amdhsa_float_round_mode_32 0
		.amdhsa_float_round_mode_16_64 0
		.amdhsa_float_denorm_mode_32 3
		.amdhsa_float_denorm_mode_16_64 3
		.amdhsa_dx10_clamp 1
		.amdhsa_ieee_mode 1
		.amdhsa_fp16_overflow 0
		.amdhsa_workgroup_processor_mode 1
		.amdhsa_memory_ordered 1
		.amdhsa_forward_progress 0
		.amdhsa_shared_vgpr_count 0
		.amdhsa_exception_fp_ieee_invalid_op 0
		.amdhsa_exception_fp_denorm_src 0
		.amdhsa_exception_fp_ieee_div_zero 0
		.amdhsa_exception_fp_ieee_overflow 0
		.amdhsa_exception_fp_ieee_underflow 0
		.amdhsa_exception_fp_ieee_inexact 0
		.amdhsa_exception_int_div_zero 0
	.end_amdhsa_kernel
	.text
.Lfunc_end0:
	.size	bluestein_single_fwd_len144_dim1_dp_op_CI_CI, .Lfunc_end0-bluestein_single_fwd_len144_dim1_dp_op_CI_CI
                                        ; -- End function
	.section	.AMDGPU.csdata,"",@progbits
; Kernel info:
; codeLenInByte = 10216
; NumSgprs: 22
; NumVgprs: 236
; ScratchSize: 0
; MemoryBound: 0
; FloatMode: 240
; IeeeMode: 1
; LDSByteSize: 23040 bytes/workgroup (compile time only)
; SGPRBlocks: 2
; VGPRBlocks: 29
; NumSGPRsForWavesPerEU: 22
; NumVGPRsForWavesPerEU: 236
; Occupancy: 4
; WaveLimiterHint : 1
; COMPUTE_PGM_RSRC2:SCRATCH_EN: 0
; COMPUTE_PGM_RSRC2:USER_SGPR: 6
; COMPUTE_PGM_RSRC2:TRAP_HANDLER: 0
; COMPUTE_PGM_RSRC2:TGID_X_EN: 1
; COMPUTE_PGM_RSRC2:TGID_Y_EN: 0
; COMPUTE_PGM_RSRC2:TGID_Z_EN: 0
; COMPUTE_PGM_RSRC2:TIDIG_COMP_CNT: 0
	.text
	.p2alignl 6, 3214868480
	.fill 48, 4, 3214868480
	.type	__hip_cuid_63a5154f920ff9bf,@object ; @__hip_cuid_63a5154f920ff9bf
	.section	.bss,"aw",@nobits
	.globl	__hip_cuid_63a5154f920ff9bf
__hip_cuid_63a5154f920ff9bf:
	.byte	0                               ; 0x0
	.size	__hip_cuid_63a5154f920ff9bf, 1

	.ident	"AMD clang version 19.0.0git (https://github.com/RadeonOpenCompute/llvm-project roc-6.4.0 25133 c7fe45cf4b819c5991fe208aaa96edf142730f1d)"
	.section	".note.GNU-stack","",@progbits
	.addrsig
	.addrsig_sym __hip_cuid_63a5154f920ff9bf
	.amdgpu_metadata
---
amdhsa.kernels:
  - .args:
      - .actual_access:  read_only
        .address_space:  global
        .offset:         0
        .size:           8
        .value_kind:     global_buffer
      - .actual_access:  read_only
        .address_space:  global
        .offset:         8
        .size:           8
        .value_kind:     global_buffer
      - .actual_access:  read_only
        .address_space:  global
        .offset:         16
        .size:           8
        .value_kind:     global_buffer
      - .actual_access:  read_only
        .address_space:  global
        .offset:         24
        .size:           8
        .value_kind:     global_buffer
      - .actual_access:  read_only
        .address_space:  global
        .offset:         32
        .size:           8
        .value_kind:     global_buffer
      - .offset:         40
        .size:           8
        .value_kind:     by_value
      - .address_space:  global
        .offset:         48
        .size:           8
        .value_kind:     global_buffer
      - .address_space:  global
        .offset:         56
        .size:           8
        .value_kind:     global_buffer
      - .address_space:  global
        .offset:         64
        .size:           8
        .value_kind:     global_buffer
      - .address_space:  global
        .offset:         72
        .size:           8
        .value_kind:     global_buffer
      - .offset:         80
        .size:           4
        .value_kind:     by_value
      - .address_space:  global
        .offset:         88
        .size:           8
        .value_kind:     global_buffer
      - .address_space:  global
        .offset:         96
        .size:           8
        .value_kind:     global_buffer
    .group_segment_fixed_size: 23040
    .kernarg_segment_align: 8
    .kernarg_segment_size: 104
    .language:       OpenCL C
    .language_version:
      - 2
      - 0
    .max_flat_workgroup_size: 120
    .name:           bluestein_single_fwd_len144_dim1_dp_op_CI_CI
    .private_segment_fixed_size: 0
    .sgpr_count:     22
    .sgpr_spill_count: 0
    .symbol:         bluestein_single_fwd_len144_dim1_dp_op_CI_CI.kd
    .uniform_work_group_size: 1
    .uses_dynamic_stack: false
    .vgpr_count:     236
    .vgpr_spill_count: 0
    .wavefront_size: 32
    .workgroup_processor_mode: 1
amdhsa.target:   amdgcn-amd-amdhsa--gfx1030
amdhsa.version:
  - 1
  - 2
...

	.end_amdgpu_metadata
